;; amdgpu-corpus repo=ROCm/rocFFT kind=compiled arch=gfx1201 opt=O3
	.text
	.amdgcn_target "amdgcn-amd-amdhsa--gfx1201"
	.amdhsa_code_object_version 6
	.protected	fft_rtc_fwd_len192_factors_8_6_4_wgs_480_tpt_48_sp_ip_CI_sbcc_dirReg ; -- Begin function fft_rtc_fwd_len192_factors_8_6_4_wgs_480_tpt_48_sp_ip_CI_sbcc_dirReg
	.globl	fft_rtc_fwd_len192_factors_8_6_4_wgs_480_tpt_48_sp_ip_CI_sbcc_dirReg
	.p2align	8
	.type	fft_rtc_fwd_len192_factors_8_6_4_wgs_480_tpt_48_sp_ip_CI_sbcc_dirReg,@function
fft_rtc_fwd_len192_factors_8_6_4_wgs_480_tpt_48_sp_ip_CI_sbcc_dirReg: ; @fft_rtc_fwd_len192_factors_8_6_4_wgs_480_tpt_48_sp_ip_CI_sbcc_dirReg
; %bb.0:
	s_load_b128 s[8:11], s[0:1], 0x18
	s_mov_b32 s17, 0
	s_mov_b32 s2, 0x99986000
	s_movk_i32 s3, 0x59
	s_mov_b32 s16, s17
	s_mov_b64 s[24:25], 0
	s_add_nc_u64 s[4:5], s[16:17], s[2:3]
	s_delay_alu instid0(SALU_CYCLE_1) | instskip(NEXT) | instid1(SALU_CYCLE_1)
	s_add_co_i32 s5, s5, 0x19999940
	s_mul_u64 s[6:7], s[4:5], -10
	s_delay_alu instid0(SALU_CYCLE_1)
	s_mul_hi_u32 s13, s4, s7
	s_mul_i32 s12, s4, s7
	s_mul_hi_u32 s16, s4, s6
	s_mul_i32 s15, s5, s6
	s_add_nc_u64 s[12:13], s[16:17], s[12:13]
	s_mul_hi_u32 s14, s5, s6
	s_mul_hi_u32 s18, s5, s7
	s_mul_i32 s6, s5, s7
	s_wait_kmcnt 0x0
	s_load_b64 s[2:3], s[8:9], 0x8
	s_add_co_u32 s7, s12, s15
	s_add_co_ci_u32 s16, s13, s14
	s_add_co_ci_u32 s7, s18, 0
	s_delay_alu instid0(SALU_CYCLE_1) | instskip(NEXT) | instid1(SALU_CYCLE_1)
	s_add_nc_u64 s[6:7], s[16:17], s[6:7]
	v_add_co_u32 v1, s4, s4, s6
	s_delay_alu instid0(VALU_DEP_1) | instskip(SKIP_1) | instid1(VALU_DEP_1)
	s_cmp_lg_u32 s4, 0
	s_add_co_ci_u32 s12, s5, s7
	v_readfirstlane_b32 s13, v1
	s_wait_kmcnt 0x0
	s_add_nc_u64 s[4:5], s[2:3], -1
	s_wait_alu 0xfffe
	s_mul_hi_u32 s7, s4, s12
	s_mul_i32 s6, s4, s12
	s_mul_hi_u32 s16, s4, s13
	s_mul_hi_u32 s15, s5, s13
	s_mul_i32 s13, s5, s13
	s_wait_alu 0xfffe
	s_add_nc_u64 s[6:7], s[16:17], s[6:7]
	s_mul_hi_u32 s14, s5, s12
	s_wait_alu 0xfffe
	s_add_co_u32 s6, s6, s13
	s_add_co_ci_u32 s16, s7, s15
	s_mul_i32 s12, s5, s12
	s_add_co_ci_u32 s13, s14, 0
	s_delay_alu instid0(SALU_CYCLE_1) | instskip(SKIP_2) | instid1(SALU_CYCLE_1)
	s_add_nc_u64 s[6:7], s[16:17], s[12:13]
	s_wait_alu 0xfffe
	s_mul_u64 s[12:13], s[6:7], 10
	v_sub_co_u32 v1, s4, s4, s12
	s_delay_alu instid0(VALU_DEP_1) | instskip(SKIP_1) | instid1(VALU_DEP_1)
	s_cmp_lg_u32 s4, 0
	s_sub_co_ci_u32 s14, s5, s13
	v_sub_co_u32 v2, s12, v1, 10
	s_delay_alu instid0(VALU_DEP_1) | instskip(SKIP_2) | instid1(VALU_DEP_2)
	s_cmp_lg_u32 s12, 0
	v_readfirstlane_b32 s16, v1
	s_sub_co_ci_u32 s12, s14, 0
	v_readfirstlane_b32 s4, v2
	s_delay_alu instid0(VALU_DEP_1)
	s_cmp_gt_u32 s4, 9
	s_add_nc_u64 s[4:5], s[6:7], 1
	s_cselect_b32 s15, -1, 0
	s_wait_alu 0xfffe
	s_cmp_eq_u32 s12, 0
	s_add_nc_u64 s[12:13], s[6:7], 2
	s_cselect_b32 s15, s15, -1
	s_delay_alu instid0(SALU_CYCLE_1)
	s_cmp_lg_u32 s15, 0
	s_wait_alu 0xfffe
	s_cselect_b32 s4, s12, s4
	s_cselect_b32 s5, s13, s5
	s_cmp_gt_u32 s16, 9
	s_mov_b32 s16, ttmp9
	s_cselect_b32 s12, -1, 0
	s_cmp_eq_u32 s14, 0
	s_wait_alu 0xfffe
	s_cselect_b32 s12, s12, -1
	s_wait_alu 0xfffe
	s_cmp_lg_u32 s12, 0
	s_cselect_b32 s5, s5, s7
	s_cselect_b32 s4, s4, s6
	s_wait_alu 0xfffe
	s_add_nc_u64 s[18:19], s[4:5], 1
	s_delay_alu instid0(SALU_CYCLE_1) | instskip(NEXT) | instid1(VALU_DEP_1)
	v_cmp_lt_u64_e64 s4, s[16:17], s[18:19]
	s_and_b32 vcc_lo, exec_lo, s4
	s_cbranch_vccnz .LBB0_2
; %bb.1:
	v_cvt_f32_u32_e32 v1, s18
	s_sub_co_i32 s5, 0, s18
	s_mov_b32 s25, s17
	s_delay_alu instid0(VALU_DEP_1) | instskip(NEXT) | instid1(TRANS32_DEP_1)
	v_rcp_iflag_f32_e32 v1, v1
	v_mul_f32_e32 v1, 0x4f7ffffe, v1
	s_delay_alu instid0(VALU_DEP_1) | instskip(NEXT) | instid1(VALU_DEP_1)
	v_cvt_u32_f32_e32 v1, v1
	v_readfirstlane_b32 s4, v1
	s_wait_alu 0xfffe
	s_delay_alu instid0(VALU_DEP_1)
	s_mul_i32 s5, s5, s4
	s_wait_alu 0xfffe
	s_mul_hi_u32 s5, s4, s5
	s_wait_alu 0xfffe
	s_add_co_i32 s4, s4, s5
	s_wait_alu 0xfffe
	s_mul_hi_u32 s4, s16, s4
	s_wait_alu 0xfffe
	s_mul_i32 s5, s4, s18
	s_add_co_i32 s6, s4, 1
	s_wait_alu 0xfffe
	s_sub_co_i32 s5, s16, s5
	s_wait_alu 0xfffe
	s_sub_co_i32 s7, s5, s18
	s_cmp_ge_u32 s5, s18
	s_cselect_b32 s4, s6, s4
	s_wait_alu 0xfffe
	s_cselect_b32 s5, s7, s5
	s_add_co_i32 s6, s4, 1
	s_wait_alu 0xfffe
	s_cmp_ge_u32 s5, s18
	s_cselect_b32 s24, s6, s4
.LBB0_2:
	s_load_b64 s[22:23], s[0:1], 0x10
	s_load_b128 s[4:7], s[10:11], 0x0
	s_load_b64 s[12:13], s[0:1], 0x0
	s_mul_u64 s[14:15], s[24:25], s[18:19]
	s_delay_alu instid0(SALU_CYCLE_1) | instskip(NEXT) | instid1(SALU_CYCLE_1)
	s_sub_nc_u64 s[14:15], s[16:17], s[14:15]
	s_mul_u64 s[14:15], s[14:15], 10
	s_wait_kmcnt 0x0
	v_cmp_lt_u64_e64 s20, s[22:23], 3
	s_delay_alu instid0(VALU_DEP_1)
	s_and_b32 vcc_lo, exec_lo, s20
	s_mul_u64 s[20:21], s[6:7], s[14:15]
	s_cbranch_vccnz .LBB0_12
; %bb.3:
	s_add_nc_u64 s[26:27], s[10:11], 16
	s_add_nc_u64 s[8:9], s[8:9], 16
	s_mov_b64 s[28:29], 2
	s_mov_b32 s30, 0
.LBB0_4:                                ; =>This Inner Loop Header: Depth=1
	s_load_b64 s[34:35], s[8:9], 0x0
                                        ; implicit-def: $sgpr38_sgpr39
	s_wait_kmcnt 0x0
	s_or_b64 s[36:37], s[24:25], s[34:35]
	s_delay_alu instid0(SALU_CYCLE_1)
	s_mov_b32 s31, s37
	s_mov_b32 s37, -1
	s_wait_alu 0xfffe
	s_cmp_lg_u64 s[30:31], 0
	s_cbranch_scc0 .LBB0_6
; %bb.5:                                ;   in Loop: Header=BB0_4 Depth=1
	s_cvt_f32_u32 s31, s34
	s_cvt_f32_u32 s33, s35
	s_sub_nc_u64 s[40:41], 0, s[34:35]
	s_mov_b32 s37, 0
	s_mov_b32 s45, s30
	s_wait_alu 0xfffe
	s_fmamk_f32 s31, s33, 0x4f800000, s31
	s_wait_alu 0xfffe
	s_delay_alu instid0(SALU_CYCLE_2) | instskip(NEXT) | instid1(TRANS32_DEP_1)
	v_s_rcp_f32 s31, s31
	s_mul_f32 s31, s31, 0x5f7ffffc
	s_wait_alu 0xfffe
	s_delay_alu instid0(SALU_CYCLE_2) | instskip(NEXT) | instid1(SALU_CYCLE_3)
	s_mul_f32 s33, s31, 0x2f800000
	s_trunc_f32 s33, s33
	s_delay_alu instid0(SALU_CYCLE_3) | instskip(SKIP_2) | instid1(SALU_CYCLE_1)
	s_fmamk_f32 s31, s33, 0xcf800000, s31
	s_cvt_u32_f32 s39, s33
	s_wait_alu 0xfffe
	s_cvt_u32_f32 s38, s31
	s_wait_alu 0xfffe
	s_delay_alu instid0(SALU_CYCLE_2)
	s_mul_u64 s[42:43], s[40:41], s[38:39]
	s_wait_alu 0xfffe
	s_mul_hi_u32 s47, s38, s43
	s_mul_i32 s46, s38, s43
	s_mul_hi_u32 s36, s38, s42
	s_mul_i32 s33, s39, s42
	s_add_nc_u64 s[46:47], s[36:37], s[46:47]
	s_mul_hi_u32 s31, s39, s42
	s_mul_hi_u32 s48, s39, s43
	s_add_co_u32 s33, s46, s33
	s_wait_alu 0xfffe
	s_add_co_ci_u32 s44, s47, s31
	s_mul_i32 s42, s39, s43
	s_add_co_ci_u32 s43, s48, 0
	s_wait_alu 0xfffe
	s_add_nc_u64 s[42:43], s[44:45], s[42:43]
	s_wait_alu 0xfffe
	v_add_co_u32 v1, s31, s38, s42
	s_delay_alu instid0(VALU_DEP_1) | instskip(SKIP_1) | instid1(VALU_DEP_1)
	s_cmp_lg_u32 s31, 0
	s_add_co_ci_u32 s39, s39, s43
	v_readfirstlane_b32 s38, v1
	s_mov_b32 s43, s30
	s_wait_alu 0xfffe
	s_delay_alu instid0(VALU_DEP_1)
	s_mul_u64 s[40:41], s[40:41], s[38:39]
	s_wait_alu 0xfffe
	s_mul_hi_u32 s45, s38, s41
	s_mul_i32 s44, s38, s41
	s_mul_hi_u32 s36, s38, s40
	s_mul_i32 s33, s39, s40
	s_add_nc_u64 s[44:45], s[36:37], s[44:45]
	s_mul_hi_u32 s31, s39, s40
	s_mul_hi_u32 s38, s39, s41
	s_add_co_u32 s33, s44, s33
	s_wait_alu 0xfffe
	s_add_co_ci_u32 s42, s45, s31
	s_mul_i32 s40, s39, s41
	s_add_co_ci_u32 s41, s38, 0
	s_wait_alu 0xfffe
	s_add_nc_u64 s[40:41], s[42:43], s[40:41]
	s_wait_alu 0xfffe
	v_add_co_u32 v1, s31, v1, s40
	s_delay_alu instid0(VALU_DEP_1) | instskip(SKIP_1) | instid1(VALU_DEP_1)
	s_cmp_lg_u32 s31, 0
	s_add_co_ci_u32 s31, s39, s41
	v_readfirstlane_b32 s33, v1
	s_wait_alu 0xfffe
	s_mul_hi_u32 s39, s24, s31
	s_mul_i32 s38, s24, s31
	s_mul_hi_u32 s41, s25, s31
	s_mul_i32 s40, s25, s31
	;; [unrolled: 2-line block ×3, first 2 shown]
	s_wait_alu 0xfffe
	s_add_nc_u64 s[38:39], s[36:37], s[38:39]
	s_mul_hi_u32 s33, s25, s33
	s_wait_alu 0xfffe
	s_add_co_u32 s31, s38, s31
	s_add_co_ci_u32 s42, s39, s33
	s_add_co_ci_u32 s41, s41, 0
	s_wait_alu 0xfffe
	s_add_nc_u64 s[38:39], s[42:43], s[40:41]
	s_wait_alu 0xfffe
	s_mul_u64 s[40:41], s[34:35], s[38:39]
	s_add_nc_u64 s[42:43], s[38:39], 1
	s_wait_alu 0xfffe
	v_sub_co_u32 v1, s31, s24, s40
	s_sub_co_i32 s33, s25, s41
	s_cmp_lg_u32 s31, 0
	s_add_nc_u64 s[44:45], s[38:39], 2
	s_delay_alu instid0(VALU_DEP_1) | instskip(SKIP_2) | instid1(VALU_DEP_1)
	v_sub_co_u32 v2, s36, v1, s34
	s_sub_co_ci_u32 s33, s33, s35
	s_cmp_lg_u32 s36, 0
	v_readfirstlane_b32 s36, v2
	s_sub_co_ci_u32 s33, s33, 0
	s_delay_alu instid0(SALU_CYCLE_1) | instskip(SKIP_1) | instid1(VALU_DEP_1)
	s_cmp_ge_u32 s33, s35
	s_cselect_b32 s40, -1, 0
	s_cmp_ge_u32 s36, s34
	s_cselect_b32 s36, -1, 0
	s_cmp_eq_u32 s33, s35
	s_wait_alu 0xfffe
	s_cselect_b32 s33, s36, s40
	s_delay_alu instid0(SALU_CYCLE_1)
	s_cmp_lg_u32 s33, 0
	s_cselect_b32 s33, s44, s42
	s_cselect_b32 s36, s45, s43
	s_cmp_lg_u32 s31, 0
	v_readfirstlane_b32 s31, v1
	s_sub_co_ci_u32 s40, s25, s41
	s_wait_alu 0xfffe
	s_cmp_ge_u32 s40, s35
	s_cselect_b32 s41, -1, 0
	s_cmp_ge_u32 s31, s34
	s_cselect_b32 s31, -1, 0
	s_cmp_eq_u32 s40, s35
	s_wait_alu 0xfffe
	s_cselect_b32 s31, s31, s41
	s_wait_alu 0xfffe
	s_cmp_lg_u32 s31, 0
	s_cselect_b32 s39, s36, s39
	s_cselect_b32 s38, s33, s38
.LBB0_6:                                ;   in Loop: Header=BB0_4 Depth=1
	s_and_not1_b32 vcc_lo, exec_lo, s37
	s_cbranch_vccnz .LBB0_8
; %bb.7:                                ;   in Loop: Header=BB0_4 Depth=1
	v_cvt_f32_u32_e32 v1, s34
	s_sub_co_i32 s33, 0, s34
	s_mov_b32 s39, s30
	s_delay_alu instid0(VALU_DEP_1) | instskip(NEXT) | instid1(TRANS32_DEP_1)
	v_rcp_iflag_f32_e32 v1, v1
	v_mul_f32_e32 v1, 0x4f7ffffe, v1
	s_delay_alu instid0(VALU_DEP_1) | instskip(NEXT) | instid1(VALU_DEP_1)
	v_cvt_u32_f32_e32 v1, v1
	v_readfirstlane_b32 s31, v1
	s_delay_alu instid0(VALU_DEP_1) | instskip(NEXT) | instid1(SALU_CYCLE_1)
	s_mul_i32 s33, s33, s31
	s_mul_hi_u32 s33, s31, s33
	s_delay_alu instid0(SALU_CYCLE_1)
	s_add_co_i32 s31, s31, s33
	s_wait_alu 0xfffe
	s_mul_hi_u32 s31, s24, s31
	s_wait_alu 0xfffe
	s_mul_i32 s33, s31, s34
	s_add_co_i32 s36, s31, 1
	s_sub_co_i32 s33, s24, s33
	s_delay_alu instid0(SALU_CYCLE_1)
	s_sub_co_i32 s37, s33, s34
	s_cmp_ge_u32 s33, s34
	s_cselect_b32 s31, s36, s31
	s_cselect_b32 s33, s37, s33
	s_wait_alu 0xfffe
	s_add_co_i32 s36, s31, 1
	s_cmp_ge_u32 s33, s34
	s_cselect_b32 s38, s36, s31
.LBB0_8:                                ;   in Loop: Header=BB0_4 Depth=1
	s_load_b64 s[36:37], s[26:27], 0x0
	s_add_nc_u64 s[28:29], s[28:29], 1
	s_mul_u64 s[18:19], s[34:35], s[18:19]
	s_wait_alu 0xfffe
	v_cmp_ge_u64_e64 s31, s[28:29], s[22:23]
	s_mul_u64 s[34:35], s[38:39], s[34:35]
	s_add_nc_u64 s[26:27], s[26:27], 8
	s_wait_alu 0xfffe
	s_sub_nc_u64 s[24:25], s[24:25], s[34:35]
	s_add_nc_u64 s[8:9], s[8:9], 8
	s_and_b32 vcc_lo, exec_lo, s31
	s_wait_kmcnt 0x0
	s_wait_alu 0xfffe
	s_mul_u64 s[24:25], s[36:37], s[24:25]
	s_wait_alu 0xfffe
	s_add_nc_u64 s[20:21], s[24:25], s[20:21]
	s_cbranch_vccnz .LBB0_10
; %bb.9:                                ;   in Loop: Header=BB0_4 Depth=1
	s_mov_b64 s[24:25], s[38:39]
	s_branch .LBB0_4
.LBB0_10:
	v_cmp_lt_u64_e64 s8, s[16:17], s[18:19]
	s_mov_b64 s[24:25], 0
	s_delay_alu instid0(VALU_DEP_1)
	s_and_b32 vcc_lo, exec_lo, s8
	s_cbranch_vccnz .LBB0_12
; %bb.11:
	v_cvt_f32_u32_e32 v1, s18
	s_sub_co_i32 s9, 0, s18
	s_mov_b32 s25, 0
	s_delay_alu instid0(VALU_DEP_1) | instskip(NEXT) | instid1(TRANS32_DEP_1)
	v_rcp_iflag_f32_e32 v1, v1
	v_mul_f32_e32 v1, 0x4f7ffffe, v1
	s_delay_alu instid0(VALU_DEP_1) | instskip(NEXT) | instid1(VALU_DEP_1)
	v_cvt_u32_f32_e32 v1, v1
	v_readfirstlane_b32 s8, v1
	s_delay_alu instid0(VALU_DEP_1) | instskip(NEXT) | instid1(SALU_CYCLE_1)
	s_mul_i32 s9, s9, s8
	s_mul_hi_u32 s9, s8, s9
	s_delay_alu instid0(SALU_CYCLE_1) | instskip(NEXT) | instid1(SALU_CYCLE_1)
	s_add_co_i32 s8, s8, s9
	s_mul_hi_u32 s8, s16, s8
	s_delay_alu instid0(SALU_CYCLE_1) | instskip(NEXT) | instid1(SALU_CYCLE_1)
	s_mul_i32 s9, s8, s18
	s_sub_co_i32 s9, s16, s9
	s_add_co_i32 s16, s8, 1
	s_sub_co_i32 s17, s9, s18
	s_cmp_ge_u32 s9, s18
	s_wait_alu 0xfffe
	s_cselect_b32 s8, s16, s8
	s_cselect_b32 s9, s17, s9
	s_add_co_i32 s16, s8, 1
	s_cmp_ge_u32 s9, s18
	s_wait_alu 0xfffe
	s_cselect_b32 s24, s16, s8
.LBB0_12:
	s_load_b64 s[8:9], s[0:1], 0x58
	s_lshl_b64 s[0:1], s[22:23], 3
	v_mul_u32_u24_e32 v1, 0x199a, v0
	s_add_nc_u64 s[0:1], s[10:11], s[0:1]
	s_add_nc_u64 s[16:17], s[14:15], 10
	s_load_b64 s[10:11], s[0:1], 0x0
	v_cmp_le_u64_e64 s1, s[16:17], s[2:3]
	v_lshrrev_b32_e32 v18, 16, v1
	v_cmp_gt_u32_e64 s0, 0xf0, v0
	v_cmp_gt_u64_e64 s16, s[16:17], s[2:3]
                                        ; implicit-def: $vgpr6
                                        ; implicit-def: $vgpr4
                                        ; implicit-def: $vgpr8
                                        ; implicit-def: $vgpr2
                                        ; implicit-def: $vgpr14
                                        ; implicit-def: $vgpr10
                                        ; implicit-def: $vgpr16
                                        ; implicit-def: $vgpr12
	s_delay_alu instid0(VALU_DEP_3) | instskip(NEXT) | instid1(VALU_DEP_3)
	v_mul_lo_u16 v1, v18, 10
	s_and_b32 s18, s0, s1
	s_delay_alu instid0(VALU_DEP_1) | instskip(NEXT) | instid1(VALU_DEP_1)
	v_sub_nc_u16 v1, v0, v1
	v_and_b32_e32 v17, 0xffff, v1
	s_wait_kmcnt 0x0
	s_mul_u64 s[10:11], s[10:11], s[24:25]
	s_delay_alu instid0(SALU_CYCLE_1)
	s_add_nc_u64 s[10:11], s[10:11], s[20:21]
	s_wait_alu 0xfffe
	s_and_saveexec_b32 s17, s18
	s_cbranch_execz .LBB0_14
; %bb.13:
	v_mad_co_u64_u32 v[1:2], null, s6, v17, 0
	v_mad_co_u64_u32 v[3:4], null, s4, v18, 0
	s_lshl_b64 s[18:19], s[10:11], 3
	v_add_nc_u32_e32 v19, 0x78, v18
	s_wait_alu 0xfffe
	s_add_nc_u64 s[18:19], s[8:9], s[18:19]
	v_add_nc_u32_e32 v25, 0xa8, v18
	v_add_nc_u32_e32 v24, 0x90, v18
	s_delay_alu instid0(VALU_DEP_4) | instskip(NEXT) | instid1(VALU_DEP_1)
	v_mad_co_u64_u32 v[5:6], null, s7, v17, v[2:3]
	v_dual_mov_b32 v2, v5 :: v_dual_add_nc_u32 v13, 24, v18
	s_delay_alu instid0(VALU_DEP_1)
	v_mad_co_u64_u32 v[6:7], null, s4, v13, 0
	v_add_nc_u32_e32 v14, 48, v18
	v_mad_co_u64_u32 v[10:11], null, s5, v18, v[4:5]
	v_add_nc_u32_e32 v15, 0x48, v18
	v_lshlrev_b64_e32 v[1:2], 3, v[1:2]
	v_mov_b32_e32 v5, v7
	v_mad_co_u64_u32 v[8:9], null, s4, v14, 0
	v_mov_b32_e32 v4, v10
	s_wait_alu 0xfffe
	s_delay_alu instid0(VALU_DEP_4) | instskip(SKIP_1) | instid1(VALU_DEP_3)
	v_add_co_u32 v26, vcc_lo, s18, v1
	v_mad_co_u64_u32 v[11:12], null, s4, v15, 0
	v_lshlrev_b64_e32 v[3:4], 3, v[3:4]
	v_mov_b32_e32 v7, v9
	v_mad_co_u64_u32 v[9:10], null, s5, v13, v[5:6]
	v_add_co_ci_u32_e32 v27, vcc_lo, s19, v2, vcc_lo
	s_delay_alu instid0(VALU_DEP_3)
	v_mad_co_u64_u32 v[13:14], null, s5, v14, v[7:8]
	v_or_b32_e32 v10, 0x60, v18
	v_add_co_u32 v1, vcc_lo, v26, v3
	v_mov_b32_e32 v7, v9
	s_wait_alu 0xfffd
	v_add_co_ci_u32_e32 v2, vcc_lo, v27, v4, vcc_lo
	v_mov_b32_e32 v5, v12
	v_mov_b32_e32 v9, v13
	v_lshlrev_b64_e32 v[3:4], 3, v[6:7]
	v_mad_co_u64_u32 v[6:7], null, s4, v10, 0
	s_delay_alu instid0(VALU_DEP_2) | instskip(SKIP_1) | instid1(VALU_DEP_3)
	v_add_co_u32 v3, vcc_lo, v26, v3
	s_wait_alu 0xfffd
	v_add_co_ci_u32_e32 v4, vcc_lo, v27, v4, vcc_lo
	s_delay_alu instid0(VALU_DEP_3) | instskip(SKIP_4) | instid1(VALU_DEP_3)
	v_mad_co_u64_u32 v[12:13], null, s5, v15, v[5:6]
	v_mad_co_u64_u32 v[13:14], null, s4, v19, 0
	v_mov_b32_e32 v5, v7
	v_lshlrev_b64_e32 v[7:8], 3, v[8:9]
	v_mad_co_u64_u32 v[15:16], null, s4, v24, 0
	v_mad_co_u64_u32 v[9:10], null, s5, v10, v[5:6]
	v_mov_b32_e32 v5, v14
	s_delay_alu instid0(VALU_DEP_4)
	v_add_co_u32 v22, vcc_lo, v26, v7
	v_lshlrev_b64_e32 v[10:11], 3, v[11:12]
	s_wait_alu 0xfffd
	v_add_co_ci_u32_e32 v23, vcc_lo, v27, v8, vcc_lo
	v_mad_co_u64_u32 v[19:20], null, s5, v19, v[5:6]
	v_mad_co_u64_u32 v[20:21], null, s4, v25, 0
	v_mov_b32_e32 v5, v16
	s_delay_alu instid0(VALU_DEP_3) | instskip(NEXT) | instid1(VALU_DEP_2)
	v_dual_mov_b32 v7, v9 :: v_dual_mov_b32 v14, v19
	v_mad_co_u64_u32 v[8:9], null, s5, v24, v[5:6]
	s_delay_alu instid0(VALU_DEP_2)
	v_lshlrev_b64_e32 v[6:7], 3, v[6:7]
	v_mov_b32_e32 v5, v21
	v_add_co_u32 v9, vcc_lo, v26, v10
	s_wait_alu 0xfffd
	v_add_co_ci_u32_e32 v10, vcc_lo, v27, v11, vcc_lo
	v_mov_b32_e32 v16, v8
	v_mad_co_u64_u32 v[11:12], null, s5, v25, v[5:6]
	v_lshlrev_b64_e32 v[12:13], 3, v[13:14]
	v_add_co_u32 v24, vcc_lo, v26, v6
	s_delay_alu instid0(VALU_DEP_4)
	v_lshlrev_b64_e32 v[5:6], 3, v[15:16]
	s_wait_alu 0xfffd
	v_add_co_ci_u32_e32 v25, vcc_lo, v27, v7, vcc_lo
	v_mov_b32_e32 v21, v11
	v_add_co_u32 v11, vcc_lo, v26, v12
	s_wait_alu 0xfffd
	v_add_co_ci_u32_e32 v12, vcc_lo, v27, v13, vcc_lo
	s_delay_alu instid0(VALU_DEP_3) | instskip(SKIP_3) | instid1(VALU_DEP_3)
	v_lshlrev_b64_e32 v[7:8], 3, v[20:21]
	v_add_co_u32 v15, vcc_lo, v26, v5
	s_wait_alu 0xfffd
	v_add_co_ci_u32_e32 v16, vcc_lo, v27, v6, vcc_lo
	v_add_co_u32 v19, vcc_lo, v26, v7
	s_wait_alu 0xfffd
	v_add_co_ci_u32_e32 v20, vcc_lo, v27, v8, vcc_lo
	s_clause 0x7
	global_load_b64 v[5:6], v[1:2], off
	global_load_b64 v[3:4], v[3:4], off
	;; [unrolled: 1-line block ×8, first 2 shown]
.LBB0_14:
	s_wait_alu 0xfffe
	s_or_b32 exec_lo, exec_lo, s17
	s_delay_alu instid0(SALU_CYCLE_1)
	s_and_not1_b32 vcc_lo, exec_lo, s16
	s_wait_alu 0xfffe
	s_cbranch_vccnz .LBB0_18
; %bb.15:
	v_add_co_u32 v19, s16, s14, v17
	s_wait_alu 0xf1ff
	v_add_co_ci_u32_e64 v20, null, s15, 0, s16
	s_delay_alu instid0(VALU_DEP_1)
	v_cmp_gt_u64_e32 vcc_lo, s[2:3], v[19:20]
	s_and_b32 s17, s0, vcc_lo
	s_wait_alu 0xfffe
	s_and_saveexec_b32 s16, s17
	s_cbranch_execz .LBB0_17
; %bb.16:
	s_wait_loadcnt 0x4
	v_mad_co_u64_u32 v[1:2], null, s6, v17, 0
	v_mad_co_u64_u32 v[3:4], null, s4, v18, 0
	s_lshl_b64 s[18:19], s[10:11], 3
	v_add_nc_u32_e32 v19, 0x78, v18
	s_wait_alu 0xfffe
	s_add_nc_u64 s[18:19], s[8:9], s[18:19]
	v_add_nc_u32_e32 v25, 0xa8, v18
	v_add_nc_u32_e32 v24, 0x90, v18
	s_delay_alu instid0(VALU_DEP_4) | instskip(SKIP_1) | instid1(VALU_DEP_1)
	v_mad_co_u64_u32 v[5:6], null, s7, v17, v[2:3]
	s_wait_loadcnt 0x3
	v_dual_mov_b32 v2, v5 :: v_dual_add_nc_u32 v13, 24, v18
	s_delay_alu instid0(VALU_DEP_1)
	v_mad_co_u64_u32 v[6:7], null, s4, v13, 0
	v_add_nc_u32_e32 v14, 48, v18
	s_wait_loadcnt 0x0
	v_mad_co_u64_u32 v[10:11], null, s5, v18, v[4:5]
	v_add_nc_u32_e32 v15, 0x48, v18
	v_lshlrev_b64_e32 v[1:2], 3, v[1:2]
	v_mov_b32_e32 v5, v7
	v_mad_co_u64_u32 v[8:9], null, s4, v14, 0
	v_mov_b32_e32 v4, v10
	s_wait_alu 0xfffe
	s_delay_alu instid0(VALU_DEP_4) | instskip(SKIP_1) | instid1(VALU_DEP_3)
	v_add_co_u32 v26, vcc_lo, s18, v1
	v_mad_co_u64_u32 v[11:12], null, s4, v15, 0
	v_lshlrev_b64_e32 v[3:4], 3, v[3:4]
	v_mov_b32_e32 v7, v9
	v_mad_co_u64_u32 v[9:10], null, s5, v13, v[5:6]
	s_wait_alu 0xfffd
	v_add_co_ci_u32_e32 v27, vcc_lo, s19, v2, vcc_lo
	s_delay_alu instid0(VALU_DEP_3)
	v_mad_co_u64_u32 v[13:14], null, s5, v14, v[7:8]
	v_or_b32_e32 v10, 0x60, v18
	v_add_co_u32 v1, vcc_lo, v26, v3
	v_mov_b32_e32 v7, v9
	s_wait_alu 0xfffd
	v_add_co_ci_u32_e32 v2, vcc_lo, v27, v4, vcc_lo
	v_mov_b32_e32 v5, v12
	v_mov_b32_e32 v9, v13
	v_lshlrev_b64_e32 v[3:4], 3, v[6:7]
	v_mad_co_u64_u32 v[6:7], null, s4, v10, 0
	s_delay_alu instid0(VALU_DEP_2) | instskip(SKIP_1) | instid1(VALU_DEP_3)
	v_add_co_u32 v3, vcc_lo, v26, v3
	s_wait_alu 0xfffd
	v_add_co_ci_u32_e32 v4, vcc_lo, v27, v4, vcc_lo
	s_delay_alu instid0(VALU_DEP_3) | instskip(SKIP_4) | instid1(VALU_DEP_3)
	v_mad_co_u64_u32 v[12:13], null, s5, v15, v[5:6]
	v_mad_co_u64_u32 v[13:14], null, s4, v19, 0
	v_mov_b32_e32 v5, v7
	v_lshlrev_b64_e32 v[7:8], 3, v[8:9]
	v_mad_co_u64_u32 v[15:16], null, s4, v24, 0
	v_mad_co_u64_u32 v[9:10], null, s5, v10, v[5:6]
	v_mov_b32_e32 v5, v14
	s_delay_alu instid0(VALU_DEP_4)
	v_add_co_u32 v22, vcc_lo, v26, v7
	v_lshlrev_b64_e32 v[10:11], 3, v[11:12]
	s_wait_alu 0xfffd
	v_add_co_ci_u32_e32 v23, vcc_lo, v27, v8, vcc_lo
	v_mad_co_u64_u32 v[19:20], null, s5, v19, v[5:6]
	v_mad_co_u64_u32 v[20:21], null, s4, v25, 0
	v_mov_b32_e32 v5, v16
	s_delay_alu instid0(VALU_DEP_3) | instskip(NEXT) | instid1(VALU_DEP_2)
	v_dual_mov_b32 v7, v9 :: v_dual_mov_b32 v14, v19
	v_mad_co_u64_u32 v[8:9], null, s5, v24, v[5:6]
	s_delay_alu instid0(VALU_DEP_2)
	v_lshlrev_b64_e32 v[6:7], 3, v[6:7]
	v_mov_b32_e32 v5, v21
	v_add_co_u32 v9, vcc_lo, v26, v10
	s_wait_alu 0xfffd
	v_add_co_ci_u32_e32 v10, vcc_lo, v27, v11, vcc_lo
	v_mov_b32_e32 v16, v8
	v_mad_co_u64_u32 v[11:12], null, s5, v25, v[5:6]
	v_lshlrev_b64_e32 v[12:13], 3, v[13:14]
	v_add_co_u32 v24, vcc_lo, v26, v6
	s_delay_alu instid0(VALU_DEP_4)
	v_lshlrev_b64_e32 v[5:6], 3, v[15:16]
	s_wait_alu 0xfffd
	v_add_co_ci_u32_e32 v25, vcc_lo, v27, v7, vcc_lo
	v_mov_b32_e32 v21, v11
	v_add_co_u32 v11, vcc_lo, v26, v12
	s_wait_alu 0xfffd
	v_add_co_ci_u32_e32 v12, vcc_lo, v27, v13, vcc_lo
	s_delay_alu instid0(VALU_DEP_3) | instskip(SKIP_3) | instid1(VALU_DEP_3)
	v_lshlrev_b64_e32 v[7:8], 3, v[20:21]
	v_add_co_u32 v15, vcc_lo, v26, v5
	s_wait_alu 0xfffd
	v_add_co_ci_u32_e32 v16, vcc_lo, v27, v6, vcc_lo
	v_add_co_u32 v19, vcc_lo, v26, v7
	s_wait_alu 0xfffd
	v_add_co_ci_u32_e32 v20, vcc_lo, v27, v8, vcc_lo
	s_clause 0x7
	global_load_b64 v[5:6], v[1:2], off
	global_load_b64 v[3:4], v[3:4], off
	;; [unrolled: 1-line block ×8, first 2 shown]
.LBB0_17:
	s_wait_alu 0xfffe
	s_or_b32 exec_lo, exec_lo, s16
.LBB0_18:
	s_wait_loadcnt 0x3
	v_dual_sub_f32 v13, v5, v13 :: v_dual_sub_f32 v14, v6, v14
	s_wait_loadcnt 0x1
	v_dual_sub_f32 v15, v7, v15 :: v_dual_sub_f32 v16, v8, v16
	v_dual_sub_f32 v9, v3, v9 :: v_dual_sub_f32 v10, v4, v10
	s_wait_loadcnt 0x0
	v_dual_sub_f32 v11, v1, v11 :: v_dual_sub_f32 v12, v2, v12
	v_fma_f32 v5, v5, 2.0, -v13
	v_fma_f32 v7, v7, 2.0, -v15
	;; [unrolled: 1-line block ×3, first 2 shown]
	s_delay_alu instid0(VALU_DEP_4)
	v_fma_f32 v1, v1, 2.0, -v11
	v_fma_f32 v6, v6, 2.0, -v14
	;; [unrolled: 1-line block ×4, first 2 shown]
	v_sub_f32_e32 v19, v5, v7
	v_dual_sub_f32 v21, v13, v16 :: v_dual_sub_f32 v24, v3, v1
	v_fma_f32 v2, v2, 2.0, -v12
	v_dual_add_f32 v23, v14, v15 :: v_dual_sub_f32 v12, v9, v12
	v_sub_f32_e32 v20, v6, v8
	v_fma_f32 v16, v5, 2.0, -v19
	v_fma_f32 v15, v13, 2.0, -v21
	s_delay_alu instid0(VALU_DEP_4)
	v_fma_f32 v26, v14, 2.0, -v23
	v_add_f32_e32 v11, v10, v11
	v_fma_f32 v1, v3, 2.0, -v24
	v_fma_f32 v3, v9, 2.0, -v12
	v_sub_f32_e32 v25, v4, v2
	v_fma_f32 v22, v6, 2.0, -v20
	s_delay_alu instid0(VALU_DEP_3) | instskip(NEXT) | instid1(VALU_DEP_3)
	v_fmamk_f32 v7, v3, 0xbf3504f3, v15
	v_fma_f32 v2, v4, 2.0, -v25
	v_fma_f32 v4, v10, 2.0, -v11
	s_delay_alu instid0(VALU_DEP_2) | instskip(NEXT) | instid1(VALU_DEP_2)
	v_dual_sub_f32 v5, v16, v1 :: v_dual_sub_f32 v6, v22, v2
	v_fmamk_f32 v8, v4, 0xbf3504f3, v26
	s_delay_alu instid0(VALU_DEP_2)
	v_fma_f32 v1, v16, 2.0, -v5
	v_fmamk_f32 v14, v11, 0x3f3504f3, v23
	v_fmamk_f32 v13, v12, 0x3f3504f3, v21
	v_add_f32_e32 v16, v20, v24
	v_fmac_f32_e32 v7, 0xbf3504f3, v4
	v_fmac_f32_e32 v8, 0x3f3504f3, v3
	v_fmac_f32_e32 v14, 0x3f3504f3, v12
	v_fmac_f32_e32 v13, 0xbf3504f3, v11
	v_fma_f32 v10, v20, 2.0, -v16
	v_lshlrev_b32_e32 v20, 3, v17
	v_fma_f32 v3, v15, 2.0, -v7
	v_sub_f32_e32 v15, v19, v25
	v_fma_f32 v2, v22, 2.0, -v6
	v_fma_f32 v4, v26, 2.0, -v8
	;; [unrolled: 1-line block ×5, first 2 shown]
	v_mul_u32_u24_e32 v19, 0x50, v18
	s_and_saveexec_b32 s16, s0
	s_cbranch_execz .LBB0_20
; %bb.19:
	s_delay_alu instid0(VALU_DEP_1) | instskip(NEXT) | instid1(VALU_DEP_1)
	v_lshlrev_b32_e32 v21, 3, v19
	v_add3_u32 v21, 0, v21, v20
	ds_store_2addr_b64 v21, v[1:2], v[3:4] offset1:10
	ds_store_2addr_b64 v21, v[9:10], v[11:12] offset0:20 offset1:30
	ds_store_2addr_b64 v21, v[5:6], v[7:8] offset0:40 offset1:50
	;; [unrolled: 1-line block ×3, first 2 shown]
.LBB0_20:
	s_wait_alu 0xfffe
	s_or_b32 exec_lo, exec_lo, s16
	v_cmp_gt_u32_e32 vcc_lo, 0x140, v0
	global_wb scope:SCOPE_SE
	s_wait_dscnt 0x0
	s_barrier_signal -1
	s_barrier_wait -1
	global_inv scope:SCOPE_SE
	s_and_saveexec_b32 s0, vcc_lo
	s_cbranch_execz .LBB0_22
; %bb.21:
	v_add3_u32 v5, 0, v19, v20
	ds_load_2addr_stride64_b64 v[1:4], v5 offset1:5
	ds_load_2addr_stride64_b64 v[9:12], v5 offset0:10 offset1:15
	ds_load_2addr_stride64_b64 v[5:8], v5 offset0:20 offset1:25
.LBB0_22:
	s_or_b32 exec_lo, exec_lo, s0
	global_wb scope:SCOPE_SE
	s_wait_dscnt 0x0
	s_barrier_signal -1
	s_barrier_wait -1
	global_inv scope:SCOPE_SE
	s_and_saveexec_b32 s0, vcc_lo
	s_cbranch_execz .LBB0_24
; %bb.23:
	v_and_b32_e32 v27, 7, v18
	v_lshrrev_b32_e32 v28, 3, v18
	s_delay_alu instid0(VALU_DEP_2) | instskip(NEXT) | instid1(VALU_DEP_2)
	v_mul_u32_u24_e32 v13, 5, v27
	v_mul_u32_u24_e32 v28, 48, v28
	s_delay_alu instid0(VALU_DEP_2)
	v_lshlrev_b32_e32 v25, 3, v13
	s_clause 0x2
	global_load_b128 v[13:16], v25, s[12:13]
	global_load_b128 v[21:24], v25, s[12:13] offset:16
	global_load_b64 v[25:26], v25, s[12:13] offset:32
	s_wait_loadcnt 0x1
	v_dual_mul_f32 v31, v4, v14 :: v_dual_mul_f32 v30, v6, v24
	v_or_b32_e32 v27, v28, v27
	v_mul_f32_e32 v24, v5, v24
	v_mul_f32_e32 v29, v10, v16
	s_wait_loadcnt 0x0
	v_dual_mul_f32 v16, v9, v16 :: v_dual_mul_f32 v33, v8, v26
	v_mul_u32_u24_e32 v27, 0x50, v27
	v_fma_f32 v5, v5, v23, -v30
	v_mul_f32_e32 v26, v7, v26
	s_delay_alu instid0(VALU_DEP_4)
	v_fmac_f32_e32 v16, v10, v15
	v_mul_f32_e32 v32, v12, v22
	v_add3_u32 v27, 0, v27, v20
	v_fma_f32 v9, v9, v15, -v29
	v_fmac_f32_e32 v26, v8, v25
	v_fmac_f32_e32 v24, v6, v23
	v_mul_f32_e32 v22, v11, v22
	v_add_nc_u32_e32 v28, 0x800, v27
	v_fma_f32 v7, v7, v25, -v33
	v_add_f32_e32 v15, v2, v16
	v_add_f32_e32 v8, v16, v24
	v_fma_f32 v6, v11, v21, -v32
	s_delay_alu instid0(VALU_DEP_2) | instskip(SKIP_2) | instid1(VALU_DEP_4)
	v_fma_f32 v23, -0.5, v8, v2
	v_mul_f32_e32 v14, v3, v14
	v_fma_f32 v3, v3, v13, -v31
	v_add_f32_e32 v10, v6, v7
	s_delay_alu instid0(VALU_DEP_3)
	v_fmac_f32_e32 v14, v4, v13
	v_sub_f32_e32 v4, v9, v5
	v_fmac_f32_e32 v22, v12, v21
	v_sub_f32_e32 v12, v6, v7
	v_add_f32_e32 v6, v3, v6
	v_fma_f32 v8, -0.5, v10, v3
	s_delay_alu instid0(VALU_DEP_2) | instskip(SKIP_4) | instid1(VALU_DEP_2)
	v_dual_add_f32 v6, v6, v7 :: v_dual_fmamk_f32 v7, v4, 0x3f5db3d7, v23
	v_fmac_f32_e32 v23, 0xbf5db3d7, v4
	v_add_f32_e32 v21, v14, v22
	v_add_f32_e32 v13, v22, v26
	v_sub_f32_e32 v11, v22, v26
	v_fma_f32 v3, -0.5, v13, v14
	v_add_f32_e32 v22, v9, v5
	v_add_f32_e32 v9, v1, v9
	v_dual_add_f32 v13, v21, v26 :: v_dual_sub_f32 v16, v16, v24
	v_add_f32_e32 v10, v15, v24
	s_delay_alu instid0(VALU_DEP_4) | instskip(NEXT) | instid1(VALU_DEP_4)
	v_fma_f32 v14, -0.5, v22, v1
	v_add_f32_e32 v5, v9, v5
	v_fmamk_f32 v9, v11, 0xbf5db3d7, v8
	v_fmac_f32_e32 v8, 0x3f5db3d7, v11
	s_delay_alu instid0(VALU_DEP_4) | instskip(SKIP_2) | instid1(VALU_DEP_2)
	v_dual_sub_f32 v2, v10, v13 :: v_dual_fmamk_f32 v21, v16, 0xbf5db3d7, v14
	v_fmamk_f32 v15, v12, 0x3f5db3d7, v3
	v_fmac_f32_e32 v3, 0xbf5db3d7, v12
	v_dual_mul_f32 v11, -0.5, v15 :: v_dual_fmac_f32 v14, 0x3f5db3d7, v16
	v_mul_f32_e32 v16, -0.5, v9
	s_delay_alu instid0(VALU_DEP_2) | instskip(NEXT) | instid1(VALU_DEP_2)
	v_dual_mul_f32 v12, 0xbf5db3d7, v8 :: v_dual_fmac_f32 v11, 0xbf5db3d7, v9
	v_dual_sub_f32 v1, v5, v6 :: v_dual_fmac_f32 v16, 0x3f5db3d7, v15
	v_dual_add_f32 v4, v10, v13 :: v_dual_mul_f32 v13, 0x3f5db3d7, v3
	s_delay_alu instid0(VALU_DEP_3) | instskip(NEXT) | instid1(VALU_DEP_4)
	v_dual_fmac_f32 v12, 0.5, v3 :: v_dual_add_f32 v3, v5, v6
	v_sub_f32_e32 v6, v7, v11
	s_delay_alu instid0(VALU_DEP_3) | instskip(NEXT) | instid1(VALU_DEP_1)
	v_dual_add_f32 v10, v7, v11 :: v_dual_fmac_f32 v13, 0.5, v8
	v_add_f32_e32 v11, v14, v13
	v_sub_f32_e32 v7, v14, v13
	v_add_f32_e32 v9, v21, v16
	v_sub_f32_e32 v8, v23, v12
	;; [unrolled: 2-line block ×3, first 2 shown]
	ds_store_2addr_b64 v27, v[3:4], v[11:12] offset1:80
	ds_store_2addr_b64 v27, v[9:10], v[1:2] offset0:160 offset1:240
	ds_store_2addr_b64 v28, v[7:8], v[5:6] offset0:64 offset1:144
.LBB0_24:
	s_or_b32 exec_lo, exec_lo, s0
	v_add_co_u32 v1, s0, s14, v17
	s_delay_alu instid0(VALU_DEP_1)
	v_add_co_ci_u32_e64 v2, null, s15, 0, s0
	global_wb scope:SCOPE_SE
	s_wait_dscnt 0x0
	s_barrier_signal -1
	s_barrier_wait -1
	v_cmp_gt_u64_e32 vcc_lo, s[2:3], v[1:2]
	global_inv scope:SCOPE_SE
	s_or_b32 s0, s1, vcc_lo
	s_wait_alu 0xfffe
	s_and_saveexec_b32 s1, s0
	s_cbranch_execz .LBB0_26
; %bb.25:
	v_mul_lo_u16 v1, v18, 43
	v_and_b32_e32 v0, 0xffff, v0
	v_mad_co_u64_u32 v[7:8], null, s6, v17, 0
	v_add3_u32 v24, 0, v19, v20
	s_delay_alu instid0(VALU_DEP_4) | instskip(NEXT) | instid1(VALU_DEP_4)
	v_lshrrev_b16 v1, 11, v1
	v_mul_u32_u24_e32 v0, 0x223, v0
	s_lshl_b64 s[0:1], s[10:11], 3
	s_wait_alu 0xfffe
	s_add_nc_u64 s[0:1], s[8:9], s[0:1]
	v_mul_lo_u16 v1, v1, 48
	v_lshrrev_b32_e32 v0, 18, v0
	s_delay_alu instid0(VALU_DEP_2) | instskip(NEXT) | instid1(VALU_DEP_2)
	v_sub_nc_u16 v1, v18, v1
	v_mul_lo_u16 v0, 0xc0, v0
	s_delay_alu instid0(VALU_DEP_2) | instskip(NEXT) | instid1(VALU_DEP_2)
	v_and_b32_e32 v9, 0xff, v1
	v_and_b32_e32 v10, 0xffff, v0
	v_mov_b32_e32 v0, v8
	s_delay_alu instid0(VALU_DEP_3) | instskip(NEXT) | instid1(VALU_DEP_3)
	v_mul_u32_u24_e32 v1, 3, v9
	v_or_b32_e32 v26, v9, v10
	s_delay_alu instid0(VALU_DEP_2) | instskip(NEXT) | instid1(VALU_DEP_2)
	v_lshlrev_b32_e32 v5, 3, v1
	v_add_nc_u32_e32 v28, 48, v26
	v_add_nc_u32_e32 v30, 0x90, v26
	s_clause 0x1
	global_load_b128 v[1:4], v5, s[12:13] offset:320
	global_load_b64 v[5:6], v5, s[12:13] offset:336
	ds_load_b64 v[9:10], v24
	ds_load_b64 v[11:12], v24 offset:11520
	ds_load_b64 v[22:23], v24 offset:7680
	;; [unrolled: 1-line block ×3, first 2 shown]
	s_wait_loadcnt 0x1
	v_mad_co_u64_u32 v[13:14], null, s7, v17, v[0:1]
	v_mad_co_u64_u32 v[14:15], null, s4, v26, 0
	;; [unrolled: 1-line block ×3, first 2 shown]
	s_delay_alu instid0(VALU_DEP_3) | instskip(NEXT) | instid1(VALU_DEP_3)
	v_dual_mov_b32 v8, v13 :: v_dual_add_nc_u32 v29, 0x60, v26
	v_mov_b32_e32 v0, v15
	s_delay_alu instid0(VALU_DEP_2) | instskip(NEXT) | instid1(VALU_DEP_4)
	v_mad_co_u64_u32 v[18:19], null, s4, v29, 0
	v_mov_b32_e32 v13, v17
	s_delay_alu instid0(VALU_DEP_4) | instskip(NEXT) | instid1(VALU_DEP_4)
	v_lshlrev_b64_e32 v[7:8], 3, v[7:8]
	v_mad_co_u64_u32 v[26:27], null, s5, v26, v[0:1]
	s_delay_alu instid0(VALU_DEP_3) | instskip(SKIP_1) | instid1(VALU_DEP_1)
	v_mad_co_u64_u32 v[27:28], null, s5, v28, v[13:14]
	v_mov_b32_e32 v0, v19
	v_mad_co_u64_u32 v[28:29], null, s5, v29, v[0:1]
	s_delay_alu instid0(VALU_DEP_3) | instskip(SKIP_2) | instid1(VALU_DEP_3)
	v_mov_b32_e32 v17, v27
	v_mad_co_u64_u32 v[20:21], null, s4, v30, 0
	s_wait_dscnt 0x0
	v_dual_mul_f32 v0, v2, v25 :: v_dual_mov_b32 v19, v28
	s_delay_alu instid0(VALU_DEP_2) | instskip(NEXT) | instid1(VALU_DEP_1)
	v_mov_b32_e32 v15, v21
	v_mad_co_u64_u32 v[29:30], null, s5, v30, v[15:16]
	v_mov_b32_e32 v15, v26
	s_wait_alu 0xfffe
	v_add_co_u32 v26, vcc_lo, s0, v7
	s_wait_alu 0xfffd
	v_add_co_ci_u32_e32 v27, vcc_lo, s1, v8, vcc_lo
	v_lshlrev_b64_e32 v[7:8], 3, v[14:15]
	v_mov_b32_e32 v21, v29
	v_lshlrev_b64_e32 v[13:14], 3, v[16:17]
	v_lshlrev_b64_e32 v[15:16], 3, v[18:19]
	s_wait_loadcnt 0x0
	v_dual_mul_f32 v17, v4, v22 :: v_dual_mul_f32 v18, v6, v12
	v_dual_mul_f32 v4, v4, v23 :: v_dual_mul_f32 v19, v2, v24
	v_mul_f32_e32 v2, v6, v11
	v_fma_f32 v6, v1, v24, -v0
	s_delay_alu instid0(VALU_DEP_4) | instskip(NEXT) | instid1(VALU_DEP_4)
	v_fma_f32 v11, v5, v11, -v18
	v_fmac_f32_e32 v19, v1, v25
	s_delay_alu instid0(VALU_DEP_4) | instskip(SKIP_1) | instid1(VALU_DEP_4)
	v_dual_fmac_f32 v17, v3, v23 :: v_dual_fmac_f32 v2, v5, v12
	v_fma_f32 v3, v3, v22, -v4
	v_sub_f32_e32 v11, v6, v11
	v_lshlrev_b64_e32 v[0:1], 3, v[20:21]
	s_delay_alu instid0(VALU_DEP_4) | instskip(NEXT) | instid1(VALU_DEP_4)
	v_sub_f32_e32 v12, v10, v17
	v_dual_sub_f32 v18, v19, v2 :: v_dual_sub_f32 v17, v9, v3
	v_add_co_u32 v2, vcc_lo, v26, v7
	s_wait_alu 0xfffd
	v_add_co_ci_u32_e32 v3, vcc_lo, v27, v8, vcc_lo
	v_fma_f32 v20, v10, 2.0, -v12
	v_fma_f32 v8, v19, 2.0, -v18
	;; [unrolled: 1-line block ×4, first 2 shown]
	v_add_co_u32 v4, vcc_lo, v26, v13
	s_delay_alu instid0(VALU_DEP_4) | instskip(SKIP_1) | instid1(VALU_DEP_4)
	v_sub_f32_e32 v9, v20, v8
	v_dual_add_f32 v7, v12, v11 :: v_dual_sub_f32 v6, v17, v18
	v_sub_f32_e32 v8, v19, v10
	s_wait_alu 0xfffd
	v_add_co_ci_u32_e32 v5, vcc_lo, v27, v14, vcc_lo
	v_add_co_u32 v10, vcc_lo, v26, v15
	s_wait_alu 0xfffd
	v_add_co_ci_u32_e32 v11, vcc_lo, v27, v16, vcc_lo
	v_fma_f32 v15, v20, 2.0, -v9
	v_fma_f32 v14, v19, 2.0, -v8
	;; [unrolled: 1-line block ×4, first 2 shown]
	v_add_co_u32 v0, vcc_lo, v26, v0
	s_wait_alu 0xfffd
	v_add_co_ci_u32_e32 v1, vcc_lo, v27, v1, vcc_lo
	s_clause 0x3
	global_store_b64 v[2:3], v[14:15], off
	global_store_b64 v[4:5], v[12:13], off
	global_store_b64 v[10:11], v[8:9], off
	global_store_b64 v[0:1], v[6:7], off
.LBB0_26:
	s_nop 0
	s_sendmsg sendmsg(MSG_DEALLOC_VGPRS)
	s_endpgm
	.section	.rodata,"a",@progbits
	.p2align	6, 0x0
	.amdhsa_kernel fft_rtc_fwd_len192_factors_8_6_4_wgs_480_tpt_48_sp_ip_CI_sbcc_dirReg
		.amdhsa_group_segment_fixed_size 0
		.amdhsa_private_segment_fixed_size 0
		.amdhsa_kernarg_size 96
		.amdhsa_user_sgpr_count 2
		.amdhsa_user_sgpr_dispatch_ptr 0
		.amdhsa_user_sgpr_queue_ptr 0
		.amdhsa_user_sgpr_kernarg_segment_ptr 1
		.amdhsa_user_sgpr_dispatch_id 0
		.amdhsa_user_sgpr_private_segment_size 0
		.amdhsa_wavefront_size32 1
		.amdhsa_uses_dynamic_stack 0
		.amdhsa_enable_private_segment 0
		.amdhsa_system_sgpr_workgroup_id_x 1
		.amdhsa_system_sgpr_workgroup_id_y 0
		.amdhsa_system_sgpr_workgroup_id_z 0
		.amdhsa_system_sgpr_workgroup_info 0
		.amdhsa_system_vgpr_workitem_id 0
		.amdhsa_next_free_vgpr 34
		.amdhsa_next_free_sgpr 49
		.amdhsa_reserve_vcc 1
		.amdhsa_float_round_mode_32 0
		.amdhsa_float_round_mode_16_64 0
		.amdhsa_float_denorm_mode_32 3
		.amdhsa_float_denorm_mode_16_64 3
		.amdhsa_fp16_overflow 0
		.amdhsa_workgroup_processor_mode 1
		.amdhsa_memory_ordered 1
		.amdhsa_forward_progress 0
		.amdhsa_round_robin_scheduling 0
		.amdhsa_exception_fp_ieee_invalid_op 0
		.amdhsa_exception_fp_denorm_src 0
		.amdhsa_exception_fp_ieee_div_zero 0
		.amdhsa_exception_fp_ieee_overflow 0
		.amdhsa_exception_fp_ieee_underflow 0
		.amdhsa_exception_fp_ieee_inexact 0
		.amdhsa_exception_int_div_zero 0
	.end_amdhsa_kernel
	.text
.Lfunc_end0:
	.size	fft_rtc_fwd_len192_factors_8_6_4_wgs_480_tpt_48_sp_ip_CI_sbcc_dirReg, .Lfunc_end0-fft_rtc_fwd_len192_factors_8_6_4_wgs_480_tpt_48_sp_ip_CI_sbcc_dirReg
                                        ; -- End function
	.section	.AMDGPU.csdata,"",@progbits
; Kernel info:
; codeLenInByte = 4824
; NumSgprs: 51
; NumVgprs: 34
; ScratchSize: 0
; MemoryBound: 0
; FloatMode: 240
; IeeeMode: 1
; LDSByteSize: 0 bytes/workgroup (compile time only)
; SGPRBlocks: 6
; VGPRBlocks: 4
; NumSGPRsForWavesPerEU: 51
; NumVGPRsForWavesPerEU: 34
; Occupancy: 15
; WaveLimiterHint : 1
; COMPUTE_PGM_RSRC2:SCRATCH_EN: 0
; COMPUTE_PGM_RSRC2:USER_SGPR: 2
; COMPUTE_PGM_RSRC2:TRAP_HANDLER: 0
; COMPUTE_PGM_RSRC2:TGID_X_EN: 1
; COMPUTE_PGM_RSRC2:TGID_Y_EN: 0
; COMPUTE_PGM_RSRC2:TGID_Z_EN: 0
; COMPUTE_PGM_RSRC2:TIDIG_COMP_CNT: 0
	.text
	.p2alignl 7, 3214868480
	.fill 96, 4, 3214868480
	.type	__hip_cuid_ec3f6e041fae6b71,@object ; @__hip_cuid_ec3f6e041fae6b71
	.section	.bss,"aw",@nobits
	.globl	__hip_cuid_ec3f6e041fae6b71
__hip_cuid_ec3f6e041fae6b71:
	.byte	0                               ; 0x0
	.size	__hip_cuid_ec3f6e041fae6b71, 1

	.ident	"AMD clang version 19.0.0git (https://github.com/RadeonOpenCompute/llvm-project roc-6.4.0 25133 c7fe45cf4b819c5991fe208aaa96edf142730f1d)"
	.section	".note.GNU-stack","",@progbits
	.addrsig
	.addrsig_sym __hip_cuid_ec3f6e041fae6b71
	.amdgpu_metadata
---
amdhsa.kernels:
  - .args:
      - .actual_access:  read_only
        .address_space:  global
        .offset:         0
        .size:           8
        .value_kind:     global_buffer
      - .address_space:  global
        .offset:         8
        .size:           8
        .value_kind:     global_buffer
      - .offset:         16
        .size:           8
        .value_kind:     by_value
      - .actual_access:  read_only
        .address_space:  global
        .offset:         24
        .size:           8
        .value_kind:     global_buffer
      - .actual_access:  read_only
        .address_space:  global
        .offset:         32
        .size:           8
        .value_kind:     global_buffer
      - .offset:         40
        .size:           8
        .value_kind:     by_value
      - .actual_access:  read_only
        .address_space:  global
        .offset:         48
        .size:           8
        .value_kind:     global_buffer
      - .actual_access:  read_only
        .address_space:  global
        .offset:         56
        .size:           8
        .value_kind:     global_buffer
      - .offset:         64
        .size:           4
        .value_kind:     by_value
      - .actual_access:  read_only
        .address_space:  global
        .offset:         72
        .size:           8
        .value_kind:     global_buffer
      - .actual_access:  read_only
        .address_space:  global
        .offset:         80
        .size:           8
        .value_kind:     global_buffer
      - .address_space:  global
        .offset:         88
        .size:           8
        .value_kind:     global_buffer
    .group_segment_fixed_size: 0
    .kernarg_segment_align: 8
    .kernarg_segment_size: 96
    .language:       OpenCL C
    .language_version:
      - 2
      - 0
    .max_flat_workgroup_size: 480
    .name:           fft_rtc_fwd_len192_factors_8_6_4_wgs_480_tpt_48_sp_ip_CI_sbcc_dirReg
    .private_segment_fixed_size: 0
    .sgpr_count:     51
    .sgpr_spill_count: 0
    .symbol:         fft_rtc_fwd_len192_factors_8_6_4_wgs_480_tpt_48_sp_ip_CI_sbcc_dirReg.kd
    .uniform_work_group_size: 1
    .uses_dynamic_stack: false
    .vgpr_count:     34
    .vgpr_spill_count: 0
    .wavefront_size: 32
    .workgroup_processor_mode: 1
amdhsa.target:   amdgcn-amd-amdhsa--gfx1201
amdhsa.version:
  - 1
  - 2
...

	.end_amdgpu_metadata
